;; amdgpu-corpus repo=ROCm/rocFFT kind=compiled arch=gfx1201 opt=O3
	.text
	.amdgcn_target "amdgcn-amd-amdhsa--gfx1201"
	.amdhsa_code_object_version 6
	.protected	fft_rtc_back_len64_factors_2_2_8_2_wgs_64_tpt_4_dim2_dp_op_CI_CI_sbcc_twdbase8_2step_dirReg ; -- Begin function fft_rtc_back_len64_factors_2_2_8_2_wgs_64_tpt_4_dim2_dp_op_CI_CI_sbcc_twdbase8_2step_dirReg
	.globl	fft_rtc_back_len64_factors_2_2_8_2_wgs_64_tpt_4_dim2_dp_op_CI_CI_sbcc_twdbase8_2step_dirReg
	.p2align	8
	.type	fft_rtc_back_len64_factors_2_2_8_2_wgs_64_tpt_4_dim2_dp_op_CI_CI_sbcc_twdbase8_2step_dirReg,@function
fft_rtc_back_len64_factors_2_2_8_2_wgs_64_tpt_4_dim2_dp_op_CI_CI_sbcc_twdbase8_2step_dirReg: ; @fft_rtc_back_len64_factors_2_2_8_2_wgs_64_tpt_4_dim2_dp_op_CI_CI_sbcc_twdbase8_2step_dirReg
; %bb.0:
	s_clause 0x1
	s_load_b128 s[4:7], s[0:1], 0x10
	s_load_b64 s[24:25], s[0:1], 0x20
	s_mov_b32 s14, ttmp9
	s_mov_b32 s15, 0
	s_wait_kmcnt 0x0
	s_load_b64 s[18:19], s[4:5], 0x8
	s_load_b64 s[20:21], s[6:7], 0x0
	s_wait_kmcnt 0x0
	s_add_nc_u64 s[2:3], s[18:19], -1
	s_delay_alu instid0(SALU_CYCLE_1) | instskip(NEXT) | instid1(SALU_CYCLE_1)
	s_lshr_b64 s[2:3], s[2:3], 4
	s_add_nc_u64 s[26:27], s[2:3], 1
	s_delay_alu instid0(SALU_CYCLE_1) | instskip(NEXT) | instid1(VALU_DEP_1)
	v_cmp_lt_u64_e64 s2, s[14:15], s[26:27]
	s_and_b32 vcc_lo, exec_lo, s2
	s_mov_b64 s[2:3], 0
	s_cbranch_vccnz .LBB0_2
; %bb.1:
	v_cvt_f32_u32_e32 v1, s26
	s_sub_co_i32 s3, 0, s26
	s_delay_alu instid0(VALU_DEP_1) | instskip(NEXT) | instid1(TRANS32_DEP_1)
	v_rcp_iflag_f32_e32 v1, v1
	v_mul_f32_e32 v1, 0x4f7ffffe, v1
	s_delay_alu instid0(VALU_DEP_1) | instskip(NEXT) | instid1(VALU_DEP_1)
	v_cvt_u32_f32_e32 v1, v1
	v_readfirstlane_b32 s2, v1
	s_delay_alu instid0(VALU_DEP_1) | instskip(NEXT) | instid1(SALU_CYCLE_1)
	s_mul_i32 s3, s3, s2
	s_mul_hi_u32 s3, s2, s3
	s_delay_alu instid0(SALU_CYCLE_1) | instskip(NEXT) | instid1(SALU_CYCLE_1)
	s_add_co_i32 s2, s2, s3
	s_mul_hi_u32 s2, s14, s2
	s_delay_alu instid0(SALU_CYCLE_1) | instskip(SKIP_2) | instid1(SALU_CYCLE_1)
	s_mul_i32 s3, s2, s26
	s_add_co_i32 s4, s2, 1
	s_sub_co_i32 s3, s14, s3
	s_sub_co_i32 s5, s3, s26
	s_cmp_ge_u32 s3, s26
	s_cselect_b32 s2, s4, s2
	s_cselect_b32 s3, s5, s3
	s_add_co_i32 s4, s2, 1
	s_cmp_ge_u32 s3, s26
	s_mov_b32 s3, s15
	s_cselect_b32 s2, s4, s2
.LBB0_2:
	s_load_b128 s[8:11], s[6:7], 0x8
	s_clause 0x1
	s_load_b64 s[16:17], s[0:1], 0x0
	s_load_b64 s[22:23], s[0:1], 0x58
	s_clause 0x1
	s_load_b64 s[12:13], s[24:25], 0x0
	s_load_b128 s[4:7], s[24:25], 0x8
	s_mul_u64 s[24:25], s[2:3], s[26:27]
	v_and_b32_e32 v68, 15, v0
	s_sub_nc_u64 s[14:15], s[14:15], s[24:25]
	v_lshrrev_b32_e32 v69, 4, v0
	s_wait_alu 0xfffe
	s_lshl_b64 s[14:15], s[14:15], 4
	s_wait_alu 0xfffe
	s_add_nc_u64 s[24:25], s[14:15], 16
	v_or_b32_e32 v65, s14, v68
	v_cmp_gt_u64_e64 s28, s[24:25], s[18:19]
	v_cmp_le_u64_e64 s24, s[24:25], s[18:19]
	v_mov_b32_e32 v66, s15
	s_delay_alu instid0(VALU_DEP_3)
	s_and_b32 vcc_lo, exec_lo, s28
	s_wait_kmcnt 0x0
	s_mul_u64 s[26:27], s[14:15], s[8:9]
	s_mul_u64 s[10:11], s[10:11], s[2:3]
	s_wait_alu 0xfffe
	s_add_nc_u64 s[10:11], s[10:11], s[26:27]
	s_cbranch_vccz .LBB0_8
; %bb.3:
	s_mov_b32 s25, exec_lo
                                        ; implicit-def: $vgpr67
                                        ; implicit-def: $vgpr70
                                        ; implicit-def: $vgpr71
                                        ; implicit-def: $vgpr72
                                        ; implicit-def: $vgpr73
                                        ; implicit-def: $vgpr74
                                        ; implicit-def: $vgpr75
	v_cmpx_le_u64_e64 s[18:19], v[65:66]
	s_wait_alu 0xfffe
	s_xor_b32 s25, exec_lo, s25
; %bb.4:
	v_or_b32_e32 v67, 4, v69
	v_or_b32_e32 v70, 8, v69
	v_or_b32_e32 v71, 12, v69
	v_or_b32_e32 v72, 16, v69
	v_or_b32_e32 v73, 20, v69
	v_or_b32_e32 v74, 24, v69
	v_or_b32_e32 v75, 28, v69
; %bb.5:
	s_wait_alu 0xfffe
	s_or_saveexec_b32 s25, s25
                                        ; implicit-def: $vgpr1_vgpr2
                                        ; implicit-def: $vgpr5_vgpr6
                                        ; implicit-def: $vgpr21_vgpr22
                                        ; implicit-def: $vgpr29_vgpr30
                                        ; implicit-def: $vgpr33_vgpr34
                                        ; implicit-def: $vgpr41_vgpr42
                                        ; implicit-def: $vgpr57_vgpr58
                                        ; implicit-def: $vgpr53_vgpr54
                                        ; implicit-def: $vgpr45_vgpr46
                                        ; implicit-def: $vgpr49_vgpr50
                                        ; implicit-def: $vgpr61_vgpr62
                                        ; implicit-def: $vgpr37_vgpr38
                                        ; implicit-def: $vgpr25_vgpr26
                                        ; implicit-def: $vgpr17_vgpr18
                                        ; implicit-def: $vgpr9_vgpr10
                                        ; implicit-def: $vgpr13_vgpr14
	s_wait_alu 0xfffe
	s_xor_b32 exec_lo, exec_lo, s25
	s_cbranch_execz .LBB0_7
; %bb.6:
	v_mad_co_u64_u32 v[1:2], null, s8, v68, 0
	v_mad_co_u64_u32 v[3:4], null, s20, v69, 0
	v_or_b32_e32 v13, 32, v69
	v_or_b32_e32 v67, 4, v69
	;; [unrolled: 1-line block ×3, first 2 shown]
	s_lshl_b64 s[26:27], s[10:11], 4
	v_or_b32_e32 v70, 8, v69
	s_wait_alu 0xfffe
	s_add_nc_u64 s[26:27], s[22:23], s[26:27]
	v_mad_co_u64_u32 v[5:6], null, s9, v68, v[2:3]
	v_mad_co_u64_u32 v[6:7], null, s20, v13, 0
	;; [unrolled: 1-line block ×4, first 2 shown]
	s_delay_alu instid0(VALU_DEP_4) | instskip(NEXT) | instid1(VALU_DEP_4)
	v_mad_co_u64_u32 v[10:11], null, s21, v69, v[4:5]
	v_dual_mov_b32 v2, v5 :: v_dual_mov_b32 v5, v7
	s_delay_alu instid0(VALU_DEP_4) | instskip(SKIP_1) | instid1(VALU_DEP_3)
	v_mov_b32_e32 v7, v9
	v_mad_co_u64_u32 v[11:12], null, s20, v15, 0
	v_lshlrev_b64_e32 v[1:2], 4, v[1:2]
	v_mov_b32_e32 v4, v10
	v_mad_co_u64_u32 v[9:10], null, s21, v13, v[5:6]
	v_mad_co_u64_u32 v[13:14], null, s21, v67, v[7:8]
	s_delay_alu instid0(VALU_DEP_3) | instskip(SKIP_4) | instid1(VALU_DEP_3)
	v_lshlrev_b64_e32 v[3:4], 4, v[3:4]
	s_wait_alu 0xfffe
	v_add_co_u32 v57, vcc_lo, s26, v1
	v_add_co_ci_u32_e32 v58, vcc_lo, s27, v2, vcc_lo
	v_mov_b32_e32 v7, v9
	v_add_co_u32 v1, vcc_lo, v57, v3
	s_wait_alu 0xfffd
	s_delay_alu instid0(VALU_DEP_3) | instskip(NEXT) | instid1(VALU_DEP_3)
	v_add_co_ci_u32_e32 v2, vcc_lo, v58, v4, vcc_lo
	v_lshlrev_b64_e32 v[4:5], 4, v[6:7]
	v_mov_b32_e32 v3, v12
	v_or_b32_e32 v31, 44, v69
	v_or_b32_e32 v72, 16, v69
	;; [unrolled: 1-line block ×4, first 2 shown]
	v_mad_co_u64_u32 v[6:7], null, s21, v15, v[3:4]
	v_or_b32_e32 v15, 40, v69
	v_mad_co_u64_u32 v[27:28], null, s20, v31, 0
	v_mov_b32_e32 v9, v13
	v_add_co_u32 v13, vcc_lo, v57, v4
	v_mov_b32_e32 v12, v6
	s_wait_alu 0xfffd
	v_add_co_ci_u32_e32 v14, vcc_lo, v58, v5, vcc_lo
	v_mov_b32_e32 v5, v18
	v_mad_co_u64_u32 v[19:20], null, s20, v15, 0
	v_lshlrev_b64_e32 v[6:7], 4, v[11:12]
	v_lshlrev_b64_e32 v[3:4], 4, v[8:9]
	v_mad_co_u64_u32 v[29:30], null, s20, v72, 0
	v_mad_co_u64_u32 v[25:26], null, s20, v71, 0
	s_delay_alu instid0(VALU_DEP_4) | instskip(NEXT) | instid1(VALU_DEP_4)
	v_mad_co_u64_u32 v[8:9], null, s21, v70, v[5:6]
	v_add_co_u32 v9, vcc_lo, v57, v3
	v_mov_b32_e32 v3, v20
	s_wait_alu 0xfffd
	v_add_co_ci_u32_e32 v10, vcc_lo, v58, v4, vcc_lo
	v_add_co_u32 v11, vcc_lo, v57, v6
	v_mov_b32_e32 v18, v8
	v_mad_co_u64_u32 v[20:21], null, s21, v15, v[3:4]
	v_mov_b32_e32 v21, v26
	s_wait_alu 0xfffd
	v_add_co_ci_u32_e32 v12, vcc_lo, v58, v7, vcc_lo
	v_lshlrev_b64_e32 v[17:18], 4, v[17:18]
	v_mad_co_u64_u32 v[33:34], null, s20, v37, 0
	v_lshlrev_b64_e32 v[19:20], 4, v[19:20]
	v_mad_co_u64_u32 v[21:22], null, s21, v71, v[21:22]
	s_delay_alu instid0(VALU_DEP_4)
	v_add_co_u32 v17, vcc_lo, v57, v17
	s_wait_alu 0xfffd
	v_add_co_ci_u32_e32 v18, vcc_lo, v58, v18, vcc_lo
	v_mov_b32_e32 v22, v28
	v_add_co_u32 v23, vcc_lo, v57, v19
	v_mov_b32_e32 v28, v30
	v_or_b32_e32 v73, 20, v69
	v_mov_b32_e32 v26, v21
	s_delay_alu instid0(VALU_DEP_4) | instskip(NEXT) | instid1(VALU_DEP_4)
	v_mad_co_u64_u32 v[31:32], null, s21, v31, v[22:23]
	v_mad_co_u64_u32 v[35:36], null, s21, v72, v[28:29]
	s_delay_alu instid0(VALU_DEP_4) | instskip(NEXT) | instid1(VALU_DEP_4)
	v_mad_co_u64_u32 v[41:42], null, s20, v73, 0
	v_lshlrev_b64_e32 v[25:26], 4, v[25:26]
	v_or_b32_e32 v40, 52, v69
	v_dual_mov_b32 v28, v31 :: v_dual_mov_b32 v31, v34
	v_mov_b32_e32 v30, v35
	s_wait_alu 0xfffd
	v_add_co_ci_u32_e32 v24, vcc_lo, v58, v20, vcc_lo
	s_delay_alu instid0(VALU_DEP_3)
	v_lshlrev_b64_e32 v[27:28], 4, v[27:28]
	v_mad_co_u64_u32 v[34:35], null, s21, v37, v[31:32]
	v_add_co_u32 v25, vcc_lo, v57, v25
	v_lshlrev_b64_e32 v[35:36], 4, v[29:30]
	v_mov_b32_e32 v37, v42
	v_mad_co_u64_u32 v[43:44], null, s20, v40, 0
	s_wait_alu 0xfffd
	v_add_co_ci_u32_e32 v26, vcc_lo, v58, v26, vcc_lo
	v_add_co_u32 v31, vcc_lo, v57, v27
	v_lshlrev_b64_e32 v[33:34], 4, v[33:34]
	s_wait_alu 0xfffd
	v_add_co_ci_u32_e32 v32, vcc_lo, v58, v28, vcc_lo
	v_add_co_u32 v35, vcc_lo, v57, v35
	v_mad_co_u64_u32 v[37:38], null, s21, v73, v[37:38]
	s_wait_alu 0xfffd
	v_add_co_ci_u32_e32 v36, vcc_lo, v58, v36, vcc_lo
	v_or_b32_e32 v74, 24, v69
	v_add_co_u32 v38, vcc_lo, v57, v33
	s_delay_alu instid0(VALU_DEP_4) | instskip(SKIP_1) | instid1(VALU_DEP_4)
	v_dual_mov_b32 v33, v44 :: v_dual_mov_b32 v42, v37
	v_or_b32_e32 v52, 56, v69
	v_mad_co_u64_u32 v[45:46], null, s20, v74, 0
	s_delay_alu instid0(VALU_DEP_3) | instskip(NEXT) | instid1(VALU_DEP_3)
	v_mad_co_u64_u32 v[47:48], null, s21, v40, v[33:34]
	v_mad_co_u64_u32 v[48:49], null, s20, v52, 0
	v_or_b32_e32 v75, 28, v69
	v_or_b32_e32 v59, 60, v69
	v_lshlrev_b64_e32 v[41:42], 4, v[41:42]
	s_wait_alu 0xfffd
	v_add_co_ci_u32_e32 v39, vcc_lo, v58, v34, vcc_lo
	v_mov_b32_e32 v44, v47
	v_mad_co_u64_u32 v[46:47], null, s21, v74, v[46:47]
	v_mov_b32_e32 v47, v49
	v_mad_co_u64_u32 v[50:51], null, s20, v75, 0
	s_delay_alu instid0(VALU_DEP_4) | instskip(SKIP_1) | instid1(VALU_DEP_4)
	v_lshlrev_b64_e32 v[43:44], 4, v[43:44]
	v_add_co_u32 v41, vcc_lo, v57, v41
	v_mad_co_u64_u32 v[52:53], null, s21, v52, v[47:48]
	v_mad_co_u64_u32 v[53:54], null, s20, v59, 0
	v_mov_b32_e32 v47, v51
	s_wait_alu 0xfffd
	v_add_co_ci_u32_e32 v42, vcc_lo, v58, v42, vcc_lo
	v_add_co_u32 v55, vcc_lo, v57, v43
	v_mov_b32_e32 v49, v52
	v_mad_co_u64_u32 v[51:52], null, s21, v75, v[47:48]
	v_mov_b32_e32 v47, v54
	s_wait_alu 0xfffd
	v_add_co_ci_u32_e32 v56, vcc_lo, v58, v44, vcc_lo
	v_lshlrev_b64_e32 v[43:44], 4, v[45:46]
	s_clause 0x3
	global_load_b128 v[1:4], v[1:2], off
	global_load_b128 v[13:16], v[13:14], off
	;; [unrolled: 1-line block ×4, first 2 shown]
	v_mad_co_u64_u32 v[45:46], null, s21, v59, v[47:48]
	v_lshlrev_b64_e32 v[46:47], 4, v[48:49]
	s_clause 0x1
	global_load_b128 v[17:20], v[17:18], off
	global_load_b128 v[21:24], v[23:24], off
	v_add_co_u32 v48, vcc_lo, v57, v43
	s_wait_alu 0xfffd
	v_add_co_ci_u32_e32 v49, vcc_lo, v58, v44, vcc_lo
	v_mov_b32_e32 v54, v45
	v_lshlrev_b64_e32 v[43:44], 4, v[50:51]
	v_add_co_u32 v45, vcc_lo, v57, v46
	s_wait_alu 0xfffd
	v_add_co_ci_u32_e32 v46, vcc_lo, v58, v47, vcc_lo
	v_lshlrev_b64_e32 v[50:51], 4, v[53:54]
	s_delay_alu instid0(VALU_DEP_4)
	v_add_co_u32 v53, vcc_lo, v57, v43
	s_wait_alu 0xfffd
	v_add_co_ci_u32_e32 v54, vcc_lo, v58, v44, vcc_lo
	s_clause 0x1
	global_load_b128 v[25:28], v[25:26], off
	global_load_b128 v[29:32], v[31:32], off
	v_add_co_u32 v76, vcc_lo, v57, v50
	s_clause 0x1
	global_load_b128 v[33:36], v[35:36], off
	global_load_b128 v[37:40], v[38:39], off
	s_wait_alu 0xfffd
	v_add_co_ci_u32_e32 v77, vcc_lo, v58, v51, vcc_lo
	s_clause 0x5
	global_load_b128 v[41:44], v[41:42], off
	global_load_b128 v[61:64], v[55:56], off
	;; [unrolled: 1-line block ×6, first 2 shown]
.LBB0_7:
	s_or_b32 exec_lo, exec_lo, s25
	v_or_b32_e32 v76, 32, v69
	s_cbranch_execz .LBB0_9
	s_branch .LBB0_10
.LBB0_8:
                                        ; implicit-def: $vgpr1_vgpr2
                                        ; implicit-def: $vgpr5_vgpr6
                                        ; implicit-def: $vgpr21_vgpr22
                                        ; implicit-def: $vgpr29_vgpr30
                                        ; implicit-def: $vgpr33_vgpr34
                                        ; implicit-def: $vgpr41_vgpr42
                                        ; implicit-def: $vgpr57_vgpr58
                                        ; implicit-def: $vgpr53_vgpr54
                                        ; implicit-def: $vgpr45_vgpr46
                                        ; implicit-def: $vgpr49_vgpr50
                                        ; implicit-def: $vgpr61_vgpr62
                                        ; implicit-def: $vgpr37_vgpr38
                                        ; implicit-def: $vgpr25_vgpr26
                                        ; implicit-def: $vgpr17_vgpr18
                                        ; implicit-def: $vgpr9_vgpr10
                                        ; implicit-def: $vgpr13_vgpr14
                                        ; implicit-def: $vgpr67
                                        ; implicit-def: $vgpr70
                                        ; implicit-def: $vgpr71
                                        ; implicit-def: $vgpr72
                                        ; implicit-def: $vgpr73
                                        ; implicit-def: $vgpr74
                                        ; implicit-def: $vgpr75
	v_or_b32_e32 v76, 32, v69
.LBB0_9:
	s_wait_loadcnt 0xf
	v_mad_co_u64_u32 v[1:2], null, s8, v68, 0
	v_mad_co_u64_u32 v[3:4], null, s20, v69, 0
	v_or_b32_e32 v67, 4, v69
	s_wait_loadcnt 0xd
	v_mad_co_u64_u32 v[5:6], null, s20, v76, 0
	v_or_b32_e32 v15, 36, v69
	s_lshl_b64 s[10:11], s[10:11], 4
	v_or_b32_e32 v70, 8, v69
	v_mad_co_u64_u32 v[7:8], null, s9, v68, v[2:3]
	s_wait_loadcnt 0xc
	v_mad_co_u64_u32 v[8:9], null, s20, v67, 0
	v_mad_co_u64_u32 v[10:11], null, s21, v69, v[4:5]
	;; [unrolled: 1-line block ×3, first 2 shown]
	s_delay_alu instid0(VALU_DEP_4) | instskip(SKIP_1) | instid1(VALU_DEP_4)
	v_mov_b32_e32 v2, v7
	s_add_nc_u64 s[8:9], s[22:23], s[10:11]
	v_mov_b32_e32 v7, v9
	s_wait_loadcnt 0xb
	v_mad_co_u64_u32 v[17:18], null, s20, v70, 0
	v_mov_b32_e32 v4, v10
	v_lshlrev_b64_e32 v[1:2], 4, v[1:2]
	v_mad_co_u64_u32 v[9:10], null, s21, v76, v[6:7]
	v_mad_co_u64_u32 v[13:14], null, s21, v67, v[7:8]
	s_delay_alu instid0(VALU_DEP_4)
	v_lshlrev_b64_e32 v[3:4], 4, v[3:4]
	s_wait_loadcnt 0x2
	s_wait_alu 0xfffe
	v_add_co_u32 v57, vcc_lo, s8, v1
	s_wait_alu 0xfffd
	v_add_co_ci_u32_e32 v58, vcc_lo, s9, v2, vcc_lo
	s_delay_alu instid0(VALU_DEP_4) | instskip(NEXT) | instid1(VALU_DEP_3)
	v_dual_mov_b32 v6, v9 :: v_dual_mov_b32 v9, v13
	v_add_co_u32 v1, vcc_lo, v57, v3
	s_wait_alu 0xfffd
	s_delay_alu instid0(VALU_DEP_3) | instskip(NEXT) | instid1(VALU_DEP_3)
	v_add_co_ci_u32_e32 v2, vcc_lo, v58, v4, vcc_lo
	v_lshlrev_b64_e32 v[4:5], 4, v[5:6]
	v_mov_b32_e32 v3, v12
	v_or_b32_e32 v71, 12, v69
	v_or_b32_e32 v31, 44, v69
	v_or_b32_e32 v72, 16, v69
	v_or_b32_e32 v37, 48, v69
	v_mad_co_u64_u32 v[6:7], null, s21, v15, v[3:4]
	v_or_b32_e32 v15, 40, v69
	v_add_co_u32 v13, vcc_lo, v57, v4
	s_wait_alu 0xfffd
	v_add_co_ci_u32_e32 v14, vcc_lo, v58, v5, vcc_lo
	s_delay_alu instid0(VALU_DEP_4) | instskip(SKIP_3) | instid1(VALU_DEP_4)
	v_dual_mov_b32 v5, v18 :: v_dual_mov_b32 v12, v6
	v_mad_co_u64_u32 v[19:20], null, s20, v15, 0
	v_lshlrev_b64_e32 v[3:4], 4, v[8:9]
	v_mad_co_u64_u32 v[25:26], null, s20, v71, 0
	v_lshlrev_b64_e32 v[6:7], 4, v[11:12]
	v_mad_co_u64_u32 v[27:28], null, s20, v31, 0
	v_mad_co_u64_u32 v[29:30], null, s20, v72, 0
	v_or_b32_e32 v73, 20, v69
	s_delay_alu instid0(VALU_DEP_4)
	v_mad_co_u64_u32 v[8:9], null, s21, v70, v[5:6]
	v_add_co_u32 v9, vcc_lo, v57, v3
	v_mov_b32_e32 v3, v20
	s_wait_alu 0xfffd
	v_add_co_ci_u32_e32 v10, vcc_lo, v58, v4, vcc_lo
	v_add_co_u32 v11, vcc_lo, v57, v6
	v_mov_b32_e32 v18, v8
	v_mad_co_u64_u32 v[20:21], null, s21, v15, v[3:4]
	v_mov_b32_e32 v21, v26
	s_wait_alu 0xfffd
	v_add_co_ci_u32_e32 v12, vcc_lo, v58, v7, vcc_lo
	v_lshlrev_b64_e32 v[17:18], 4, v[17:18]
	v_mad_co_u64_u32 v[33:34], null, s20, v37, 0
	v_lshlrev_b64_e32 v[19:20], 4, v[19:20]
	v_mad_co_u64_u32 v[21:22], null, s21, v71, v[21:22]
	v_mov_b32_e32 v22, v28
	v_add_co_u32 v17, vcc_lo, v57, v17
	s_wait_alu 0xfffd
	v_add_co_ci_u32_e32 v18, vcc_lo, v58, v18, vcc_lo
	v_add_co_u32 v23, vcc_lo, v57, v19
	v_mad_co_u64_u32 v[41:42], null, s20, v73, 0
	v_mov_b32_e32 v28, v30
	s_delay_alu instid0(VALU_DEP_3) | instskip(SKIP_2) | instid1(VALU_DEP_4)
	v_mad_co_u64_u32 v[31:32], null, s21, v31, v[22:23]
	v_or_b32_e32 v40, 52, v69
	v_mov_b32_e32 v26, v21
	v_mad_co_u64_u32 v[35:36], null, s21, v72, v[28:29]
	s_wait_alu 0xfffd
	v_add_co_ci_u32_e32 v24, vcc_lo, v58, v20, vcc_lo
	v_mad_co_u64_u32 v[43:44], null, s20, v40, 0
	v_dual_mov_b32 v28, v31 :: v_dual_mov_b32 v31, v34
	v_lshlrev_b64_e32 v[25:26], 4, v[25:26]
	v_mov_b32_e32 v30, v35
	v_or_b32_e32 v74, 24, v69
	s_delay_alu instid0(VALU_DEP_4)
	v_lshlrev_b64_e32 v[27:28], 4, v[27:28]
	v_mad_co_u64_u32 v[34:35], null, s21, v37, v[31:32]
	v_add_co_u32 v25, vcc_lo, v57, v25
	v_lshlrev_b64_e32 v[35:36], 4, v[29:30]
	s_wait_alu 0xfffd
	v_add_co_ci_u32_e32 v26, vcc_lo, v58, v26, vcc_lo
	v_add_co_u32 v31, vcc_lo, v57, v27
	v_mov_b32_e32 v37, v42
	v_lshlrev_b64_e32 v[33:34], 4, v[33:34]
	s_wait_alu 0xfffd
	v_add_co_ci_u32_e32 v32, vcc_lo, v58, v28, vcc_lo
	v_add_co_u32 v35, vcc_lo, v57, v35
	s_wait_alu 0xfffd
	v_add_co_ci_u32_e32 v36, vcc_lo, v58, v36, vcc_lo
	v_mad_co_u64_u32 v[37:38], null, s21, v73, v[37:38]
	v_add_co_u32 v38, vcc_lo, v57, v33
	v_mov_b32_e32 v33, v44
	v_or_b32_e32 v52, 56, v69
	s_wait_loadcnt 0x1
	v_mad_co_u64_u32 v[45:46], null, s20, v74, 0
	v_or_b32_e32 v75, 28, v69
	v_mad_co_u64_u32 v[47:48], null, s21, v40, v[33:34]
	v_mad_co_u64_u32 v[48:49], null, s20, v52, 0
	s_delay_alu instid0(VALU_DEP_3)
	v_mad_co_u64_u32 v[50:51], null, s20, v75, 0
	v_or_b32_e32 v59, 60, v69
	v_mov_b32_e32 v42, v37
	v_mov_b32_e32 v44, v47
	v_mad_co_u64_u32 v[46:47], null, s21, v74, v[46:47]
	v_mov_b32_e32 v47, v49
	s_wait_alu 0xfffd
	v_add_co_ci_u32_e32 v39, vcc_lo, v58, v34, vcc_lo
	s_clause 0x5
	global_load_b128 v[1:4], v[1:2], off
	global_load_b128 v[13:16], v[13:14], off
	global_load_b128 v[5:8], v[9:10], off
	global_load_b128 v[9:12], v[11:12], off
	global_load_b128 v[17:20], v[17:18], off
	global_load_b128 v[21:24], v[23:24], off
	s_wait_loadcnt 0x6
	v_mad_co_u64_u32 v[52:53], null, s21, v52, v[47:48]
	v_mad_co_u64_u32 v[53:54], null, s20, v59, 0
	v_mov_b32_e32 v47, v51
	v_lshlrev_b64_e32 v[41:42], 4, v[41:42]
	s_clause 0x3
	global_load_b128 v[25:28], v[25:26], off
	global_load_b128 v[29:32], v[31:32], off
	global_load_b128 v[33:36], v[35:36], off
	global_load_b128 v[37:40], v[38:39], off
	v_mov_b32_e32 v49, v52
	v_lshlrev_b64_e32 v[43:44], 4, v[43:44]
	v_mad_co_u64_u32 v[51:52], null, s21, v75, v[47:48]
	v_add_co_u32 v41, vcc_lo, v57, v41
	v_mov_b32_e32 v47, v54
	s_wait_alu 0xfffd
	v_add_co_ci_u32_e32 v42, vcc_lo, v58, v42, vcc_lo
	v_add_co_u32 v55, vcc_lo, v57, v43
	s_wait_alu 0xfffd
	v_add_co_ci_u32_e32 v56, vcc_lo, v58, v44, vcc_lo
	v_lshlrev_b64_e32 v[43:44], 4, v[45:46]
	v_mad_co_u64_u32 v[45:46], null, s21, v59, v[47:48]
	v_lshlrev_b64_e32 v[46:47], 4, v[48:49]
	s_delay_alu instid0(VALU_DEP_3) | instskip(SKIP_1) | instid1(VALU_DEP_4)
	v_add_co_u32 v48, vcc_lo, v57, v43
	s_wait_alu 0xfffd
	v_add_co_ci_u32_e32 v49, vcc_lo, v58, v44, vcc_lo
	s_delay_alu instid0(VALU_DEP_4)
	v_mov_b32_e32 v54, v45
	v_lshlrev_b64_e32 v[43:44], 4, v[50:51]
	v_add_co_u32 v45, vcc_lo, v57, v46
	s_wait_alu 0xfffd
	v_add_co_ci_u32_e32 v46, vcc_lo, v58, v47, vcc_lo
	v_lshlrev_b64_e32 v[50:51], 4, v[53:54]
	s_delay_alu instid0(VALU_DEP_4) | instskip(SKIP_2) | instid1(VALU_DEP_3)
	v_add_co_u32 v53, vcc_lo, v57, v43
	s_wait_alu 0xfffd
	v_add_co_ci_u32_e32 v54, vcc_lo, v58, v44, vcc_lo
	v_add_co_u32 v77, vcc_lo, v57, v50
	s_wait_alu 0xfffd
	v_add_co_ci_u32_e32 v78, vcc_lo, v58, v51, vcc_lo
	s_clause 0x5
	global_load_b128 v[41:44], v[41:42], off
	global_load_b128 v[61:64], v[55:56], off
	;; [unrolled: 1-line block ×6, first 2 shown]
.LBB0_10:
	s_wait_loadcnt 0xe
	v_add_f64_e64 v[13:14], v[1:2], -v[13:14]
	v_add_f64_e64 v[15:16], v[3:4], -v[15:16]
	s_wait_loadcnt 0xc
	v_add_f64_e64 v[9:10], v[5:6], -v[9:10]
	v_add_f64_e64 v[11:12], v[7:8], -v[11:12]
	;; [unrolled: 3-line block ×8, first 2 shown]
	v_lshlrev_b32_e32 v81, 9, v71
	v_lshlrev_b32_e32 v82, 9, v72
	;; [unrolled: 1-line block ×5, first 2 shown]
	v_and_b32_e32 v86, 16, v0
	s_mov_b32 s8, 0x667f3bcd
	s_mov_b32 s9, 0xbfe6a09e
	;; [unrolled: 1-line block ×3, first 2 shown]
	s_wait_alu 0xfffe
	s_mov_b32 s10, s8
	v_cmp_gt_u64_e32 vcc_lo, s[18:19], v[65:66]
	v_fma_f64 v[77:78], v[1:2], 2.0, -v[13:14]
	v_fma_f64 v[79:80], v[3:4], 2.0, -v[15:16]
	v_fma_f64 v[2:3], v[5:6], 2.0, -v[9:10]
	v_fma_f64 v[4:5], v[7:8], 2.0, -v[11:12]
	v_fma_f64 v[17:18], v[17:18], 2.0, -v[21:22]
	v_fma_f64 v[19:20], v[19:20], 2.0, -v[23:24]
	v_fma_f64 v[25:26], v[25:26], 2.0, -v[29:30]
	v_fma_f64 v[27:28], v[27:28], 2.0, -v[31:32]
	v_fma_f64 v[33:34], v[33:34], 2.0, -v[37:38]
	v_fma_f64 v[35:36], v[35:36], 2.0, -v[39:40]
	v_fma_f64 v[41:42], v[41:42], 2.0, -v[61:62]
	v_fma_f64 v[43:44], v[43:44], 2.0, -v[63:64]
	v_fma_f64 v[49:50], v[49:50], 2.0, -v[57:58]
	v_fma_f64 v[51:52], v[51:52], 2.0, -v[59:60]
	v_fma_f64 v[45:46], v[45:46], 2.0, -v[53:54]
	v_fma_f64 v[47:48], v[47:48], 2.0, -v[55:56]
	v_lshlrev_b32_e32 v6, 9, v69
	v_lshlrev_b32_e32 v1, 4, v68
	;; [unrolled: 1-line block ×4, first 2 shown]
	s_delay_alu instid0(VALU_DEP_3) | instskip(NEXT) | instid1(VALU_DEP_3)
	v_add3_u32 v6, 0, v6, v1
	v_add3_u32 v7, 0, v7, v1
	s_delay_alu instid0(VALU_DEP_3)
	v_add3_u32 v8, 0, v8, v1
	v_add3_u32 v81, 0, v81, v1
	;; [unrolled: 1-line block ×6, first 2 shown]
	ds_store_b128 v6, v[13:16] offset:256
	ds_store_b128 v6, v[77:80]
	ds_store_b128 v7, v[2:5]
	ds_store_b128 v7, v[9:12] offset:256
	ds_store_b128 v8, v[17:20]
	ds_store_b128 v8, v[21:24] offset:256
	;; [unrolled: 2-line block ×7, first 2 shown]
	global_wb scope:SCOPE_SE
	s_wait_dscnt 0x0
	s_barrier_signal -1
	s_barrier_wait -1
	global_inv scope:SCOPE_SE
	global_load_b128 v[2:5], v86, s[16:17]
	v_lshlrev_b32_e32 v6, 8, v69
	v_lshlrev_b32_e32 v35, 8, v67
	;; [unrolled: 1-line block ×4, first 2 shown]
	s_delay_alu instid0(VALU_DEP_4)
	v_add3_u32 v34, 0, v6, v1
	ds_load_b128 v[6:9], v34 offset:8192
	ds_load_b128 v[10:13], v34 offset:9216
	;; [unrolled: 1-line block ×7, first 2 shown]
	v_add3_u32 v36, 0, v35, v1
	ds_load_b128 v[37:40], v34 offset:15360
	ds_load_b128 v[48:51], v34
	ds_load_b128 v[52:55], v36
	v_lshlrev_b32_e32 v35, 8, v70
	s_wait_loadcnt_dscnt 0x9
	v_mul_f64_e32 v[41:42], v[8:9], v[4:5]
	v_mul_f64_e32 v[43:44], v[6:7], v[4:5]
	s_wait_dscnt 0x8
	v_mul_f64_e32 v[45:46], v[12:13], v[4:5]
	v_mul_f64_e32 v[56:57], v[10:11], v[4:5]
	s_wait_dscnt 0x7
	v_mul_f64_e32 v[58:59], v[16:17], v[4:5]
	v_mul_f64_e32 v[60:61], v[14:15], v[4:5]
	s_wait_dscnt 0x6
	v_mul_f64_e32 v[62:63], v[20:21], v[4:5]
	v_mul_f64_e32 v[77:78], v[18:19], v[4:5]
	s_wait_dscnt 0x5
	v_mul_f64_e32 v[79:80], v[24:25], v[4:5]
	v_mul_f64_e32 v[81:82], v[22:23], v[4:5]
	s_wait_dscnt 0x4
	v_mul_f64_e32 v[83:84], v[28:29], v[4:5]
	v_mul_f64_e32 v[85:86], v[26:27], v[4:5]
	s_wait_dscnt 0x3
	v_mul_f64_e32 v[87:88], v[32:33], v[4:5]
	v_mul_f64_e32 v[89:90], v[30:31], v[4:5]
	s_wait_dscnt 0x2
	v_mul_f64_e32 v[91:92], v[39:40], v[4:5]
	v_mul_f64_e32 v[4:5], v[37:38], v[4:5]
	v_fma_f64 v[41:42], v[6:7], v[2:3], v[41:42]
	v_fma_f64 v[43:44], v[8:9], v[2:3], -v[43:44]
	v_fma_f64 v[45:46], v[10:11], v[2:3], v[45:46]
	v_fma_f64 v[93:94], v[12:13], v[2:3], -v[56:57]
	;; [unrolled: 2-line block ×8, first 2 shown]
	v_add3_u32 v30, 0, v35, v1
	v_lshlrev_b32_e32 v6, 8, v73
	v_add3_u32 v31, 0, v47, v1
	v_lshlrev_b32_e32 v10, 8, v74
	;; [unrolled: 2-line block ×3, first 2 shown]
	ds_load_b128 v[2:5], v30
	v_add3_u32 v33, 0, v6, v1
	ds_load_b128 v[6:9], v31
	v_add3_u32 v28, 0, v10, v1
	;; [unrolled: 2-line block ×3, first 2 shown]
	ds_load_b128 v[14:17], v33
	ds_load_b128 v[18:21], v28
	;; [unrolled: 1-line block ×3, first 2 shown]
	v_lshlrev_b32_e32 v35, 1, v67
	v_lshlrev_b32_e32 v47, 1, v75
	global_wb scope:SCOPE_SE
	s_wait_dscnt 0x0
	s_barrier_signal -1
	s_barrier_wait -1
	global_inv scope:SCOPE_SE
	v_add_f64_e64 v[56:57], v[48:49], -v[41:42]
	v_add_f64_e64 v[58:59], v[50:51], -v[43:44]
	;; [unrolled: 1-line block ×16, first 2 shown]
	v_lshlrev_b32_e32 v40, 1, v70
	v_lshl_or_b32 v26, v69, 1, v69
	v_lshlrev_b32_e32 v41, 1, v71
	v_lshlrev_b32_e32 v42, 1, v72
	v_lshlrev_b32_e32 v43, 1, v73
	v_lshlrev_b32_e32 v46, 1, v74
	v_or_b32_e32 v37, v35, v69
	v_or_b32_e32 v38, v40, v69
	v_and_b32_e32 v26, 5, v26
	v_or_b32_e32 v39, v41, v69
	v_or_b32_e32 v44, v42, v69
	;; [unrolled: 1-line block ×5, first 2 shown]
	v_and_b32_e32 v37, 0xfd, v37
	v_and_b32_e32 v38, 0xfd, v38
	v_mul_u32_u24_e32 v27, 7, v69
	v_lshlrev_b32_e32 v26, 8, v26
	v_and_b32_e32 v39, 0xfd, v39
	v_and_b32_e32 v44, 0xfd, v44
	;; [unrolled: 1-line block ×4, first 2 shown]
	v_fma_f64 v[48:49], v[48:49], 2.0, -v[56:57]
	v_fma_f64 v[50:51], v[50:51], 2.0, -v[58:59]
	;; [unrolled: 1-line block ×16, first 2 shown]
	v_and_b32_e32 v101, 0xfd, v101
	v_lshlrev_b32_e32 v37, 8, v37
	v_lshlrev_b32_e32 v38, 8, v38
	v_lshlrev_b32_e32 v27, 4, v27
	v_add3_u32 v26, 0, v26, v1
	v_lshlrev_b32_e32 v39, 8, v39
	v_lshlrev_b32_e32 v44, 8, v44
	v_lshlrev_b32_e32 v45, 8, v45
	v_lshlrev_b32_e32 v64, 8, v64
	v_lshlrev_b32_e32 v101, 8, v101
	v_add3_u32 v37, 0, v37, v1
	v_add3_u32 v38, 0, v38, v1
	;; [unrolled: 1-line block ×7, first 2 shown]
	ds_store_b128 v26, v[56:59] offset:512
	ds_store_b128 v26, v[48:51]
	ds_store_b128 v37, v[52:55]
	ds_store_b128 v37, v[60:63] offset:512
	ds_store_b128 v38, v[2:5]
	ds_store_b128 v38, v[77:80] offset:512
	;; [unrolled: 2-line block ×7, first 2 shown]
	global_wb scope:SCOPE_SE
	s_wait_dscnt 0x0
	s_barrier_signal -1
	s_barrier_wait -1
	global_inv scope:SCOPE_SE
	s_clause 0x6
	global_load_b128 v[2:5], v27, s[16:17] offset:48
	global_load_b128 v[6:9], v27, s[16:17] offset:32
	;; [unrolled: 1-line block ×7, first 2 shown]
	ds_load_b128 v[52:55], v32
	ds_load_b128 v[56:59], v34 offset:5120
	ds_load_b128 v[60:63], v28
	ds_load_b128 v[77:80], v34 offset:7168
	;; [unrolled: 2-line block ×3, first 2 shown]
	ds_load_b128 v[89:92], v34 offset:12288
	ds_load_b128 v[93:96], v34 offset:10240
	;; [unrolled: 1-line block ×3, first 2 shown]
	ds_load_b128 v[101:104], v36
	ds_load_b128 v[105:108], v34 offset:9216
	ds_load_b128 v[109:112], v34 offset:13312
	;; [unrolled: 1-line block ×4, first 2 shown]
	s_wait_loadcnt_dscnt 0x60d
	v_mul_f64_e32 v[26:27], v[54:55], v[4:5]
	v_mul_f64_e32 v[37:38], v[52:53], v[4:5]
	s_wait_dscnt 0xc
	v_mul_f64_e32 v[44:45], v[58:59], v[4:5]
	v_mul_f64_e32 v[4:5], v[56:57], v[4:5]
	s_wait_loadcnt_dscnt 0x509
	v_mul_f64_e32 v[123:124], v[81:82], v[8:9]
	s_wait_loadcnt_dscnt 0x408
	v_mul_f64_e32 v[125:126], v[87:88], v[12:13]
	v_mul_f64_e32 v[121:122], v[83:84], v[8:9]
	v_mul_f64_e32 v[127:128], v[85:86], v[12:13]
	s_wait_loadcnt_dscnt 0x307
	v_mul_f64_e32 v[129:130], v[91:92], v[16:17]
	v_mul_f64_e32 v[131:132], v[89:90], v[16:17]
	s_wait_loadcnt 0x2
	v_mul_f64_e32 v[133:134], v[62:63], v[20:21]
	v_mul_f64_e32 v[135:136], v[60:61], v[20:21]
	s_wait_loadcnt_dscnt 0x106
	v_mul_f64_e32 v[137:138], v[95:96], v[24:25]
	v_mul_f64_e32 v[139:140], v[93:94], v[24:25]
	s_wait_loadcnt_dscnt 0x5
	v_mul_f64_e32 v[141:142], v[99:100], v[50:51]
	v_fma_f64 v[26:27], v[52:53], v[2:3], v[26:27]
	v_fma_f64 v[37:38], v[54:55], v[2:3], -v[37:38]
	v_fma_f64 v[44:45], v[56:57], v[2:3], v[44:45]
	v_fma_f64 v[56:57], v[58:59], v[2:3], -v[4:5]
	v_mul_f64_e32 v[58:59], v[97:98], v[50:51]
	ds_load_b128 v[2:5], v34 offset:3072
	ds_load_b128 v[52:55], v34
	v_fma_f64 v[83:84], v[83:84], v[6:7], -v[123:124]
	v_fma_f64 v[85:86], v[85:86], v[10:11], v[125:126]
	s_wait_dscnt 0x5
	v_mul_f64_e32 v[123:124], v[107:108], v[12:13]
	v_mul_f64_e32 v[12:13], v[105:106], v[12:13]
	s_wait_dscnt 0x4
	v_mul_f64_e32 v[125:126], v[111:112], v[16:17]
	v_mul_f64_e32 v[16:17], v[109:110], v[16:17]
	v_fma_f64 v[81:82], v[81:82], v[6:7], v[121:122]
	v_fma_f64 v[87:88], v[87:88], v[10:11], -v[127:128]
	v_fma_f64 v[89:90], v[89:90], v[14:15], v[129:130]
	v_mul_f64_e32 v[127:128], v[77:78], v[20:21]
	s_wait_dscnt 0x3
	v_mul_f64_e32 v[129:130], v[115:116], v[24:25]
	v_mul_f64_e32 v[20:21], v[79:80], v[20:21]
	;; [unrolled: 1-line block ×3, first 2 shown]
	v_fma_f64 v[91:92], v[91:92], v[14:15], -v[131:132]
	v_fma_f64 v[60:61], v[60:61], v[18:19], v[133:134]
	v_fma_f64 v[62:63], v[62:63], v[18:19], -v[135:136]
	v_fma_f64 v[93:94], v[93:94], v[22:23], v[137:138]
	v_fma_f64 v[95:96], v[95:96], v[22:23], -v[139:140]
	s_wait_dscnt 0x1
	v_mul_f64_e32 v[121:122], v[4:5], v[8:9]
	v_mul_f64_e32 v[8:9], v[2:3], v[8:9]
	v_fma_f64 v[97:98], v[97:98], v[48:49], v[141:142]
	global_wb scope:SCOPE_SE
	s_wait_dscnt 0x0
	s_barrier_signal -1
	s_barrier_wait -1
	global_inv scope:SCOPE_SE
	v_fma_f64 v[58:59], v[99:100], v[48:49], -v[58:59]
	v_mul_f64_e32 v[99:100], v[119:120], v[50:51]
	v_mul_f64_e32 v[50:51], v[117:118], v[50:51]
	v_fma_f64 v[105:106], v[105:106], v[10:11], v[123:124]
	v_fma_f64 v[10:11], v[107:108], v[10:11], -v[12:13]
	v_fma_f64 v[12:13], v[111:112], v[14:15], -v[16:17]
	v_fma_f64 v[14:15], v[109:110], v[14:15], v[125:126]
	v_fma_f64 v[16:17], v[77:78], v[18:19], v[20:21]
	v_add_f64_e64 v[77:78], v[37:38], -v[91:92]
	v_fma_f64 v[2:3], v[2:3], v[6:7], v[121:122]
	v_fma_f64 v[4:5], v[4:5], v[6:7], -v[8:9]
	v_fma_f64 v[6:7], v[79:80], v[18:19], -v[127:128]
	v_fma_f64 v[8:9], v[113:114], v[22:23], v[129:130]
	v_fma_f64 v[18:19], v[115:116], v[22:23], -v[24:25]
	v_add_f64_e64 v[24:25], v[52:53], -v[85:86]
	v_add_f64_e64 v[79:80], v[81:82], -v[93:94]
	;; [unrolled: 1-line block ×4, first 2 shown]
	v_fma_f64 v[20:21], v[117:118], v[48:49], v[99:100]
	v_fma_f64 v[22:23], v[119:120], v[48:49], -v[50:51]
	v_add_f64_e64 v[48:49], v[54:55], -v[87:88]
	v_add_f64_e64 v[50:51], v[26:27], -v[89:90]
	;; [unrolled: 1-line block ×7, first 2 shown]
	v_fma_f64 v[37:38], v[37:38], 2.0, -v[77:78]
	v_add_f64_e64 v[8:9], v[2:3], -v[8:9]
	v_add_f64_e64 v[18:19], v[4:5], -v[18:19]
	v_fma_f64 v[52:53], v[52:53], 2.0, -v[24:25]
	v_add_f64_e32 v[91:92], v[24:25], v[77:78]
	v_fma_f64 v[81:82], v[81:82], 2.0, -v[79:80]
	v_fma_f64 v[83:84], v[83:84], 2.0, -v[85:86]
	v_add_f64_e32 v[95:96], v[79:80], v[58:59]
	v_add_f64_e64 v[20:21], v[16:17], -v[20:21]
	v_add_f64_e64 v[22:23], v[6:7], -v[22:23]
	v_fma_f64 v[54:55], v[54:55], 2.0, -v[48:49]
	v_fma_f64 v[58:59], v[62:63], 2.0, -v[58:59]
	;; [unrolled: 1-line block ×4, first 2 shown]
	v_add_f64_e64 v[93:94], v[48:49], -v[50:51]
	v_add_f64_e64 v[97:98], v[85:86], -v[87:88]
	;; [unrolled: 1-line block ×3, first 2 shown]
	v_fma_f64 v[99:100], v[101:102], 2.0, -v[89:90]
	v_fma_f64 v[101:102], v[103:104], 2.0, -v[10:11]
	v_add_f64_e32 v[103:104], v[89:90], v[12:13]
	v_fma_f64 v[14:15], v[44:45], 2.0, -v[14:15]
	v_fma_f64 v[12:13], v[56:57], 2.0, -v[12:13]
	;; [unrolled: 1-line block ×7, first 2 shown]
	v_add_f64_e32 v[44:45], v[8:9], v[22:23]
	v_add_f64_e64 v[56:57], v[18:19], -v[20:21]
	v_add_f64_e64 v[24:25], v[83:84], -v[58:59]
	;; [unrolled: 1-line block ×4, first 2 shown]
	v_fma_f64 v[107:108], v[48:49], 2.0, -v[93:94]
	v_fma_f64 v[111:112], v[10:11], 2.0, -v[105:106]
	v_add_f64_e64 v[10:11], v[81:82], -v[60:61]
	v_fma_f64 v[20:21], v[79:80], 2.0, -v[95:96]
	v_fma_f64 v[22:23], v[85:86], 2.0, -v[97:98]
	v_add_f64_e64 v[77:78], v[99:100], -v[14:15]
	v_add_f64_e64 v[79:80], v[101:102], -v[12:13]
	v_fma_f64 v[109:110], v[89:90], 2.0, -v[103:104]
	v_add_f64_e64 v[16:17], v[2:3], -v[16:17]
	v_add_f64_e64 v[48:49], v[4:5], -v[6:7]
	v_fma_f64 v[50:51], v[8:9], 2.0, -v[44:45]
	v_fma_f64 v[58:59], v[18:19], 2.0, -v[56:57]
	v_fma_f64 v[6:7], v[95:96], s[10:11], v[91:92]
	v_fma_f64 v[8:9], v[97:98], s[10:11], v[93:94]
	v_fma_f64 v[62:63], v[83:84], 2.0, -v[24:25]
	v_fma_f64 v[83:84], v[54:55], 2.0, -v[37:38]
	v_fma_f64 v[113:114], v[44:45], s[10:11], v[103:104]
	v_fma_f64 v[14:15], v[81:82], 2.0, -v[10:11]
	v_fma_f64 v[81:82], v[52:53], 2.0, -v[26:27]
	v_fma_f64 v[18:19], v[20:21], s[8:9], v[87:88]
	v_fma_f64 v[60:61], v[22:23], s[8:9], v[107:108]
	v_fma_f64 v[89:90], v[99:100], 2.0, -v[77:78]
	v_fma_f64 v[99:100], v[101:102], 2.0, -v[79:80]
	v_fma_f64 v[115:116], v[56:57], s[10:11], v[105:106]
	v_fma_f64 v[52:53], v[2:3], 2.0, -v[16:17]
	v_fma_f64 v[54:55], v[4:5], 2.0, -v[48:49]
	v_fma_f64 v[85:86], v[50:51], s[8:9], v[109:110]
	v_fma_f64 v[101:102], v[58:59], s[8:9], v[111:112]
	v_add_f64_e32 v[2:3], v[26:27], v[24:25]
	v_add_f64_e64 v[4:5], v[37:38], -v[10:11]
	v_fma_f64 v[6:7], v[97:98], s[10:11], v[6:7]
	v_fma_f64 v[8:9], v[95:96], s[8:9], v[8:9]
	v_add_f64_e64 v[12:13], v[79:80], -v[16:17]
	v_add_f64_e64 v[16:17], v[83:84], -v[62:63]
	;; [unrolled: 1-line block ×3, first 2 shown]
	v_fma_f64 v[18:19], v[22:23], s[10:11], v[18:19]
	v_fma_f64 v[20:21], v[20:21], s[8:9], v[60:61]
	v_add_f64_e32 v[10:11], v[77:78], v[48:49]
	v_add_f64_e64 v[22:23], v[89:90], -v[52:53]
	v_add_f64_e64 v[24:25], v[99:100], -v[54:55]
	v_fma_f64 v[48:49], v[58:59], s[10:11], v[85:86]
	v_fma_f64 v[50:51], v[50:51], s[8:9], v[101:102]
	;; [unrolled: 1-line block ×4, first 2 shown]
	v_fma_f64 v[56:57], v[26:27], 2.0, -v[2:3]
	v_fma_f64 v[58:59], v[37:38], 2.0, -v[4:5]
	;; [unrolled: 1-line block ×10, first 2 shown]
	v_lshlrev_b32_e32 v26, 3, v67
	s_or_b32 s8, s24, vcc_lo
	s_delay_alu instid0(VALU_DEP_1) | instskip(NEXT) | instid1(VALU_DEP_1)
	v_and_or_b32 v26, 0x3e0, v26, v69
	v_lshlrev_b32_e32 v26, 8, v26
	s_delay_alu instid0(VALU_DEP_1)
	v_add3_u32 v1, 0, v26, v1
	v_fma_f64 v[89:90], v[89:90], 2.0, -v[22:23]
	v_fma_f64 v[91:92], v[99:100], 2.0, -v[24:25]
	;; [unrolled: 1-line block ×6, first 2 shown]
	ds_store_b128 v34, v[2:5] offset:6144
	ds_store_b128 v34, v[6:9] offset:7168
	;; [unrolled: 1-line block ×6, first 2 shown]
	ds_store_b128 v34, v[81:84]
	ds_store_b128 v34, v[85:88] offset:1024
	ds_store_b128 v1, v[89:92]
	ds_store_b128 v1, v[93:96] offset:1024
	ds_store_b128 v1, v[77:80] offset:2048
	;; [unrolled: 1-line block ×7, first 2 shown]
	global_wb scope:SCOPE_SE
	s_wait_dscnt 0x0
	s_barrier_signal -1
	s_barrier_wait -1
	global_inv scope:SCOPE_SE
	s_wait_alu 0xfffe
	s_and_saveexec_b32 s9, s8
	s_cbranch_execz .LBB0_12
; %bb.11:
	v_and_b32_e32 v0, 48, v0
	v_and_b32_e32 v53, 31, v72
	;; [unrolled: 1-line block ×4, first 2 shown]
	v_mul_lo_u32 v24, v65, v76
	global_load_b128 v[12:15], v0, s[16:17] offset:480
	v_lshlrev_b32_e32 v1, 4, v53
	v_and_b32_e32 v49, 31, v74
	v_lshlrev_b32_e32 v25, 4, v57
	v_and_b32_e32 v52, 31, v73
	v_and_b32_e32 v56, 31, v71
	global_load_b128 v[4:7], v1, s[16:17] offset:480
	v_lshlrev_b32_e32 v0, 4, v48
	v_and_b32_e32 v38, 0xff, v24
	v_lshrrev_b32_e32 v39, 4, v24
	global_load_b128 v[24:27], v25, s[16:17] offset:480
	s_load_b64 s[8:9], s[0:1], 0x8
	global_load_b128 v[16:19], v0, s[16:17] offset:480
	v_lshlrev_b32_e32 v0, 4, v49
	v_and_b32_e32 v58, 31, v67
	v_lshlrev_b32_e32 v38, 4, v38
	v_and_b32_e32 v39, 0xff0, v39
	v_mul_lo_u32 v44, v65, v49
	global_load_b128 v[20:23], v0, s[16:17] offset:480
	v_lshlrev_b32_e32 v0, 4, v52
	v_lshlrev_b32_e32 v37, 4, v58
	v_and_or_b32 v35, 0xc0, v35, v58
	s_load_b64 s[0:1], s[0:1], 0x60
	s_mul_u64 s[2:3], s[6:7], s[2:3]
	global_load_b128 v[8:11], v0, s[16:17] offset:480
	v_lshlrev_b32_e32 v0, 4, v56
	s_lshl_b64 s[2:3], s[2:3], 4
	s_clause 0x1
	global_load_b128 v[0:3], v0, s[16:17] offset:480
	global_load_b128 v[59:62], v37, s[16:17] offset:480
	s_wait_kmcnt 0x0
	s_clause 0x1
	global_load_b128 v[70:73], v38, s[8:9]
	global_load_b128 v[77:80], v39, s[8:9] offset:4096
	v_mul_lo_u32 v37, v65, v69
	v_mul_lo_u32 v38, v65, v48
	s_delay_alu instid0(VALU_DEP_2) | instskip(SKIP_1) | instid1(VALU_DEP_3)
	v_and_b32_e32 v39, 0xff, v37
	v_lshrrev_b32_e32 v37, 4, v37
	v_and_b32_e32 v45, 0xff, v38
	v_lshrrev_b32_e32 v38, 4, v38
	s_add_nc_u64 s[0:1], s[0:1], s[2:3]
	v_lshlrev_b32_e32 v39, 4, v39
	v_and_b32_e32 v37, 0xff0, v37
	s_clause 0x1
	global_load_b128 v[81:84], v39, s[8:9]
	global_load_b128 v[85:88], v37, s[8:9] offset:4096
	v_and_b32_e32 v37, 0xff, v44
	v_lshlrev_b32_e32 v39, 4, v45
	v_lshrrev_b32_e32 v44, 4, v44
	v_and_b32_e32 v38, 0xff0, v38
	s_clause 0x1
	global_load_b128 v[89:92], v39, s[8:9]
	global_load_b128 v[93:96], v38, s[8:9] offset:4096
	v_lshlrev_b32_e32 v37, 4, v37
	v_and_b32_e32 v38, 0xff0, v44
	s_clause 0x1
	global_load_b128 v[97:100], v37, s[8:9]
	global_load_b128 v[101:104], v38, s[8:9] offset:4096
	v_mul_lo_u32 v37, v65, v52
	s_delay_alu instid0(VALU_DEP_1) | instskip(SKIP_1) | instid1(VALU_DEP_2)
	v_and_b32_e32 v38, 0xff, v37
	v_lshrrev_b32_e32 v37, 4, v37
	v_lshlrev_b32_e32 v38, 4, v38
	s_delay_alu instid0(VALU_DEP_2)
	v_and_b32_e32 v37, 0xff0, v37
	s_clause 0x1
	global_load_b128 v[105:108], v38, s[8:9]
	global_load_b128 v[109:112], v37, s[8:9] offset:4096
	ds_load_b128 v[113:116], v34 offset:8192
	ds_load_b128 v[117:120], v34 offset:15360
	ds_load_b128 v[121:124], v34
	ds_load_b128 v[125:128], v34 offset:14336
	ds_load_b128 v[129:132], v36
	ds_load_b128 v[36:39], v34 offset:13312
	ds_load_b128 v[133:136], v34 offset:12288
	s_wait_loadcnt_dscnt 0x1106
	v_mul_f64_e32 v[44:45], v[113:114], v[14:15]
	v_mul_f64_e32 v[14:15], v[115:116], v[14:15]
	s_wait_loadcnt_dscnt 0xe05
	v_mul_f64_e32 v[50:51], v[117:118], v[18:19]
	v_mul_f64_e32 v[18:19], v[119:120], v[18:19]
	;; [unrolled: 3-line block ×3, first 2 shown]
	v_fma_f64 v[63:64], v[115:116], v[12:13], -v[44:45]
	s_wait_loadcnt_dscnt 0xc01
	v_mul_f64_e32 v[44:45], v[36:37], v[10:11]
	v_mul_f64_e32 v[10:11], v[38:39], v[10:11]
	v_fma_f64 v[113:114], v[113:114], v[12:13], v[14:15]
	ds_load_b128 v[12:15], v34 offset:11264
	s_wait_dscnt 0x1
	v_mul_f64_e32 v[66:67], v[133:134], v[6:7]
	v_mul_f64_e32 v[6:7], v[135:136], v[6:7]
	v_fma_f64 v[115:116], v[119:120], v[16:17], -v[50:51]
	v_fma_f64 v[117:118], v[117:118], v[16:17], v[18:19]
	ds_load_b128 v[16:19], v34 offset:10240
	v_fma_f64 v[119:120], v[127:128], v[20:21], -v[54:55]
	v_fma_f64 v[125:126], v[125:126], v[20:21], v[22:23]
	ds_load_b128 v[20:23], v34 offset:9216
	s_wait_loadcnt 0x4
	v_mul_f64_e32 v[54:55], v[89:90], v[95:96]
	s_wait_dscnt 0x2
	v_mul_f64_e32 v[50:51], v[12:13], v[2:3]
	v_mul_f64_e32 v[74:75], v[14:15], v[2:3]
	v_mul_lo_u32 v2, v65, v53
	s_delay_alu instid0(VALU_DEP_1) | instskip(SKIP_1) | instid1(VALU_DEP_2)
	v_and_b32_e32 v3, 0xff, v2
	v_lshrrev_b32_e32 v2, 4, v2
	v_lshlrev_b32_e32 v3, 4, v3
	s_delay_alu instid0(VALU_DEP_2)
	v_and_b32_e32 v34, 0xff0, v2
	v_fma_f64 v[137:138], v[36:37], v[8:9], v[10:11]
	s_wait_dscnt 0x1
	v_mul_f64_e32 v[10:11], v[16:17], v[26:27]
	v_mul_f64_e32 v[26:27], v[18:19], v[26:27]
	v_fma_f64 v[127:128], v[38:39], v[8:9], -v[44:45]
	v_fma_f64 v[135:136], v[135:136], v[4:5], -v[66:67]
	v_fma_f64 v[133:134], v[133:134], v[4:5], v[6:7]
	s_clause 0x1
	global_load_b128 v[2:5], v3, s[8:9]
	global_load_b128 v[6:9], v34, s[8:9] offset:4096
	s_wait_dscnt 0x0
	v_mul_f64_e32 v[36:37], v[20:21], v[61:62]
	v_mul_f64_e32 v[38:39], v[22:23], v[61:62]
	;; [unrolled: 1-line block ×3, first 2 shown]
	s_wait_loadcnt 0x4
	v_mul_f64_e32 v[66:67], v[97:98], v[103:104]
	v_fma_f64 v[139:140], v[14:15], v[0:1], -v[50:51]
	v_fma_f64 v[141:142], v[12:13], v[0:1], v[74:75]
	v_mul_f64_e32 v[0:1], v[70:71], v[79:80]
	v_mul_lo_u32 v12, v65, v56
	v_mul_lo_u32 v13, v65, v57
	v_mul_f64_e32 v[50:51], v[83:84], v[87:88]
	s_wait_loadcnt 0x2
	v_mul_f64_e32 v[74:75], v[105:106], v[111:112]
	s_delay_alu instid0(VALU_DEP_4) | instskip(NEXT) | instid1(VALU_DEP_4)
	v_and_b32_e32 v14, 0xff, v12
	v_and_b32_e32 v15, 0xff, v13
	v_lshrrev_b32_e32 v12, 4, v12
	v_lshrrev_b32_e32 v13, 4, v13
	s_delay_alu instid0(VALU_DEP_4) | instskip(NEXT) | instid1(VALU_DEP_4)
	v_lshlrev_b32_e32 v14, 4, v14
	v_lshlrev_b32_e32 v61, 4, v15
	s_delay_alu instid0(VALU_DEP_4)
	v_and_b32_e32 v34, 0xff0, v12
	v_fma_f64 v[143:144], v[18:19], v[24:25], -v[10:11]
	v_fma_f64 v[145:146], v[16:17], v[24:25], v[26:27]
	v_and_b32_e32 v24, 0xff0, v13
	s_clause 0x1
	global_load_b128 v[10:13], v14, s[8:9]
	global_load_b128 v[14:17], v34, s[8:9] offset:4096
	v_mul_f64_e32 v[26:27], v[81:82], v[87:88]
	v_fma_f64 v[147:148], v[22:23], v[59:60], -v[36:37]
	v_fma_f64 v[149:150], v[20:21], v[59:60], v[38:39]
	s_clause 0x1
	global_load_b128 v[18:21], v61, s[8:9]
	global_load_b128 v[22:25], v24, s[8:9] offset:4096
	v_mul_f64_e32 v[36:37], v[91:92], v[95:96]
	v_mul_lo_u32 v34, v65, v58
	v_or_b32_e32 v38, 32, v48
	v_fma_f64 v[95:96], v[70:71], v[77:78], -v[44:45]
	s_delay_alu instid0(VALU_DEP_2) | instskip(NEXT) | instid1(VALU_DEP_4)
	v_mul_lo_u32 v38, v65, v38
	v_and_b32_e32 v39, 0xff, v34
	v_lshrrev_b32_e32 v34, 4, v34
	v_fma_f64 v[151:152], v[72:73], v[77:78], v[0:1]
	v_mul_f64_e32 v[0:1], v[99:100], v[103:104]
	s_delay_alu instid0(VALU_DEP_4)
	v_lshlrev_b32_e32 v39, 4, v39
	v_and_b32_e32 v44, 0xff, v38
	v_and_b32_e32 v34, 0xff0, v34
	v_lshrrev_b32_e32 v38, 4, v38
	s_clause 0x1
	global_load_b128 v[59:62], v39, s[8:9]
	global_load_b128 v[70:73], v34, s[8:9] offset:4096
	v_lshlrev_b32_e32 v34, 4, v44
	v_fma_f64 v[103:104], v[81:82], v[85:86], -v[50:51]
	v_and_b32_e32 v81, 0xff0, v38
	v_fma_f64 v[44:45], v[91:92], v[93:94], v[54:55]
	v_mul_f64_e32 v[54:55], v[107:108], v[111:112]
	v_fma_f64 v[50:51], v[99:100], v[101:102], v[66:67]
	v_fma_f64 v[26:27], v[83:84], v[85:86], v[26:27]
	s_clause 0x1
	global_load_b128 v[77:80], v34, s[8:9]
	global_load_b128 v[81:84], v81, s[8:9] offset:4096
	v_fma_f64 v[38:39], v[89:90], v[93:94], -v[36:37]
	v_fma_f64 v[36:37], v[97:98], v[101:102], -v[0:1]
	v_or_b32_e32 v0, 32, v49
	v_fma_f64 v[97:98], v[107:108], v[109:110], v[74:75]
	s_delay_alu instid0(VALU_DEP_2) | instskip(SKIP_1) | instid1(VALU_DEP_2)
	v_mul_lo_u32 v0, v65, v0
	v_fma_f64 v[93:94], v[105:106], v[109:110], -v[54:55]
	v_and_b32_e32 v1, 0xff, v0
	v_lshrrev_b32_e32 v0, 4, v0
	s_delay_alu instid0(VALU_DEP_2) | instskip(NEXT) | instid1(VALU_DEP_2)
	v_lshlrev_b32_e32 v1, 4, v1
	v_and_b32_e32 v0, 0xff0, v0
	s_clause 0x1
	global_load_b128 v[85:88], v1, s[8:9]
	global_load_b128 v[89:92], v0, s[8:9] offset:4096
	s_wait_loadcnt 0xa
	v_mul_f64_e32 v[0:1], v[4:5], v[8:9]
	v_mul_f64_e32 v[8:9], v[2:3], v[8:9]
	s_wait_loadcnt 0x8
	v_mul_f64_e32 v[66:67], v[12:13], v[16:17]
	s_delay_alu instid0(VALU_DEP_3) | instskip(NEXT) | instid1(VALU_DEP_3)
	v_fma_f64 v[54:55], v[2:3], v[6:7], -v[0:1]
	v_fma_f64 v[105:106], v[4:5], v[6:7], v[8:9]
	v_mul_f64_e32 v[0:1], v[10:11], v[16:17]
	s_wait_loadcnt 0x6
	v_mul_f64_e32 v[2:3], v[20:21], v[24:25]
	v_mul_f64_e32 v[4:5], v[18:19], v[24:25]
	v_or_b32_e32 v6, 32, v52
	s_delay_alu instid0(VALU_DEP_1) | instskip(NEXT) | instid1(VALU_DEP_1)
	v_mul_lo_u32 v6, v65, v6
	v_and_b32_e32 v7, 0xff, v6
	v_lshrrev_b32_e32 v6, 4, v6
	s_delay_alu instid0(VALU_DEP_2) | instskip(NEXT) | instid1(VALU_DEP_2)
	v_lshlrev_b32_e32 v7, 4, v7
	v_and_b32_e32 v6, 0xff0, v6
	s_wait_loadcnt 0x4
	v_mul_f64_e32 v[8:9], v[61:62], v[72:73]
	v_fma_f64 v[66:67], v[10:11], v[14:15], -v[66:67]
	v_mul_f64_e32 v[10:11], v[59:60], v[72:73]
	s_wait_loadcnt 0x2
	v_mul_f64_e32 v[16:17], v[79:80], v[83:84]
	v_fma_f64 v[107:108], v[12:13], v[14:15], v[0:1]
	v_fma_f64 v[109:110], v[18:19], v[22:23], -v[2:3]
	v_fma_f64 v[111:112], v[20:21], v[22:23], v[4:5]
	s_clause 0x1
	global_load_b128 v[0:3], v7, s[8:9]
	global_load_b128 v[4:7], v6, s[8:9] offset:4096
	v_or_b32_e32 v12, 32, v53
	v_mul_f64_e32 v[18:19], v[77:78], v[83:84]
	s_delay_alu instid0(VALU_DEP_2) | instskip(NEXT) | instid1(VALU_DEP_1)
	v_mul_lo_u32 v12, v65, v12
	v_and_b32_e32 v13, 0xff, v12
	v_lshrrev_b32_e32 v12, 4, v12
	s_delay_alu instid0(VALU_DEP_2) | instskip(NEXT) | instid1(VALU_DEP_2)
	v_lshlrev_b32_e32 v13, 4, v13
	v_and_b32_e32 v12, 0xff0, v12
	v_fma_f64 v[153:154], v[59:60], v[70:71], -v[8:9]
	v_fma_f64 v[60:61], v[61:62], v[70:71], v[10:11]
	s_clause 0x1
	global_load_b128 v[8:11], v13, s[8:9]
	global_load_b128 v[12:15], v12, s[8:9] offset:4096
	v_fma_f64 v[72:73], v[77:78], v[81:82], -v[16:17]
	s_wait_loadcnt 0x4
	v_mul_f64_e32 v[20:21], v[87:88], v[91:92]
	v_mul_f64_e32 v[16:17], v[85:86], v[91:92]
	v_fma_f64 v[155:156], v[79:80], v[81:82], v[18:19]
	v_or_b32_e32 v18, 32, v56
	s_delay_alu instid0(VALU_DEP_1) | instskip(NEXT) | instid1(VALU_DEP_1)
	v_mul_lo_u32 v18, v65, v18
	v_and_b32_e32 v19, 0xff, v18
	v_lshrrev_b32_e32 v18, 4, v18
	s_delay_alu instid0(VALU_DEP_2) | instskip(NEXT) | instid1(VALU_DEP_2)
	v_lshlrev_b32_e32 v19, 4, v19
	v_and_b32_e32 v22, 0xff0, v18
	v_fma_f64 v[74:75], v[85:86], v[89:90], -v[20:21]
	v_fma_f64 v[157:158], v[87:88], v[89:90], v[16:17]
	s_clause 0x1
	global_load_b128 v[16:19], v19, s[8:9]
	global_load_b128 v[20:23], v22, s[8:9] offset:4096
	s_wait_loadcnt 0x4
	v_mul_f64_e32 v[24:25], v[2:3], v[6:7]
	v_mul_f64_e32 v[6:7], v[0:1], v[6:7]
	s_wait_loadcnt 0x2
	v_mul_f64_e32 v[77:78], v[10:11], v[14:15]
	s_delay_alu instid0(VALU_DEP_3) | instskip(SKIP_1) | instid1(VALU_DEP_4)
	v_fma_f64 v[70:71], v[0:1], v[4:5], -v[24:25]
	v_mul_f64_e32 v[0:1], v[8:9], v[14:15]
	v_fma_f64 v[84:85], v[2:3], v[4:5], v[6:7]
	v_or_b32_e32 v2, 32, v57
	v_add_f64_e64 v[24:25], v[123:124], -v[63:64]
	s_delay_alu instid0(VALU_DEP_2) | instskip(NEXT) | instid1(VALU_DEP_1)
	v_mul_lo_u32 v2, v65, v2
	v_and_b32_e32 v3, 0xff, v2
	v_lshrrev_b32_e32 v2, 4, v2
	s_delay_alu instid0(VALU_DEP_2) | instskip(NEXT) | instid1(VALU_DEP_2)
	v_lshlrev_b32_e32 v3, 4, v3
	v_and_b32_e32 v4, 0xff0, v2
	v_fma_f64 v[77:78], v[8:9], v[12:13], -v[77:78]
	v_fma_f64 v[86:87], v[10:11], v[12:13], v[0:1]
	s_clause 0x1
	global_load_b128 v[0:3], v3, s[8:9]
	global_load_b128 v[4:7], v4, s[8:9] offset:4096
	s_wait_loadcnt 0x2
	v_mul_f64_e32 v[8:9], v[18:19], v[22:23]
	v_mul_f64_e32 v[10:11], v[16:17], v[22:23]
	v_or_b32_e32 v12, 32, v58
	s_delay_alu instid0(VALU_DEP_1) | instskip(NEXT) | instid1(VALU_DEP_1)
	v_mul_lo_u32 v12, v65, v12
	v_and_b32_e32 v13, 0xff, v12
	v_lshrrev_b32_e32 v12, 4, v12
	s_delay_alu instid0(VALU_DEP_2) | instskip(NEXT) | instid1(VALU_DEP_2)
	v_lshlrev_b32_e32 v13, 4, v13
	v_and_b32_e32 v12, 0xff0, v12
	v_fma_f64 v[90:91], v[16:17], v[20:21], -v[8:9]
	v_fma_f64 v[88:89], v[18:19], v[20:21], v[10:11]
	s_clause 0x1
	global_load_b128 v[8:11], v13, s[8:9]
	global_load_b128 v[12:15], v12, s[8:9] offset:4096
	ds_load_b128 v[20:23], v31
	s_wait_loadcnt 0x2
	v_mul_f64_e32 v[16:17], v[2:3], v[6:7]
	v_mul_f64_e32 v[6:7], v[0:1], v[6:7]
	s_delay_alu instid0(VALU_DEP_2) | instskip(NEXT) | instid1(VALU_DEP_2)
	v_fma_f64 v[99:100], v[0:1], v[4:5], -v[16:17]
	v_fma_f64 v[101:102], v[2:3], v[4:5], v[6:7]
	ds_load_b128 v[0:3], v33
	s_wait_loadcnt 0x0
	v_mul_f64_e32 v[6:7], v[8:9], v[14:15]
	v_mul_f64_e32 v[4:5], v[10:11], v[14:15]
	v_add_f64_e64 v[14:15], v[121:122], -v[113:114]
	ds_load_b128 v[16:19], v32
	s_wait_dscnt 0x1
	v_add_f64_e64 v[80:81], v[0:1], -v[137:138]
	v_add_f64_e64 v[82:83], v[2:3], -v[127:128]
	;; [unrolled: 1-line block ×4, first 2 shown]
	v_mad_co_u64_u32 v[139:140], null, s4, v68, 0
	v_and_or_b32 v147, 0xc0, v43, v52
	v_and_or_b32 v148, 0xc0, v47, v48
	v_fma_f64 v[62:63], v[10:11], v[12:13], v[6:7]
	v_fma_f64 v[6:7], v[123:124], 2.0, -v[24:25]
	v_fma_f64 v[33:34], v[8:9], v[12:13], -v[4:5]
	v_fma_f64 v[4:5], v[121:122], 2.0, -v[14:15]
	v_mul_f64_e32 v[8:9], v[14:15], v[151:152]
	v_mul_f64_e32 v[10:11], v[24:25], v[151:152]
	s_wait_dscnt 0x0
	v_add_f64_e64 v[121:122], v[16:17], -v[133:134]
	v_add_f64_e64 v[123:124], v[18:19], -v[135:136]
	v_fma_f64 v[12:13], v[0:1], 2.0, -v[80:81]
	v_fma_f64 v[31:32], v[2:3], 2.0, -v[82:83]
	;; [unrolled: 1-line block ×3, first 2 shown]
	v_mul_f64_e32 v[113:114], v[6:7], v[26:27]
	v_mul_f64_e32 v[64:65], v[4:5], v[26:27]
	v_fma_f64 v[2:3], v[24:25], v[95:96], -v[8:9]
	ds_load_b128 v[24:27], v30
	v_fma_f64 v[0:1], v[14:15], v[95:96], v[10:11]
	v_add_f64_e64 v[95:96], v[20:21], -v[141:142]
	v_mad_co_u64_u32 v[141:142], null, s12, v69, 0
	v_mov_b32_e32 v30, v140
	v_mul_f64_e32 v[8:9], v[12:13], v[97:98]
	v_mul_f64_e32 v[14:15], v[31:32], v[97:98]
	s_wait_dscnt 0x0
	v_add_f64_e64 v[133:134], v[24:25], -v[145:146]
	v_add_f64_e64 v[135:136], v[26:27], -v[143:144]
	v_mad_co_u64_u32 v[143:144], null, s12, v76, 0
	v_and_or_b32 v145, 0xc0, v41, v56
	v_fma_f64 v[4:5], v[4:5], v[103:104], v[113:114]
	v_add_f64_e64 v[113:114], v[129:130], -v[149:150]
	v_fma_f64 v[6:7], v[6:7], v[103:104], -v[64:65]
	v_mul_f64_e32 v[64:65], v[121:122], v[86:87]
	v_mul_f64_e32 v[86:87], v[123:124], v[86:87]
	;; [unrolled: 1-line block ×4, first 2 shown]
	v_fma_f64 v[88:89], v[18:19], 2.0, -v[123:124]
	v_fma_f64 v[10:11], v[31:32], v[93:94], -v[8:9]
	v_dual_mov_b32 v31, v142 :: v_dual_mov_b32 v32, v144
	v_and_or_b32 v146, 0xc0, v42, v53
	v_fma_f64 v[8:9], v[12:13], v[93:94], v[14:15]
	v_fma_f64 v[92:93], v[20:21], 2.0, -v[95:96]
	s_delay_alu instid0(VALU_DEP_4) | instskip(SKIP_4) | instid1(VALU_DEP_4)
	v_mad_co_u64_u32 v[58:59], null, s5, v68, v[30:31]
	v_mul_f64_e32 v[42:43], v[135:136], v[101:102]
	v_mad_co_u64_u32 v[30:31], null, s13, v69, v[31:32]
	v_mad_co_u64_u32 v[31:32], null, s13, v76, v[32:33]
	s_mul_u64 s[4:5], s[4:5], s[14:15]
	v_mov_b32_e32 v140, v58
	v_and_or_b32 v79, 0xc0, v40, v57
	v_mul_f64_e32 v[40:41], v[133:134], v[101:102]
	v_mul_f64_e32 v[56:57], v[137:138], v[62:63]
	v_and_or_b32 v102, 0xc0, v46, v49
	v_mad_co_u64_u32 v[46:47], null, s12, v35, 0
	v_mul_f64_e32 v[52:53], v[113:114], v[62:63]
	v_mad_co_u64_u32 v[48:49], null, s12, v79, 0
	v_fma_f64 v[12:13], v[121:122], v[77:78], v[86:87]
	v_fma_f64 v[86:87], v[16:17], 2.0, -v[121:122]
	v_fma_f64 v[16:17], v[95:96], v[90:91], v[103:104]
	v_mad_co_u64_u32 v[62:63], null, s12, v145, 0
	v_or_b32_e32 v103, 32, v145
	v_fma_f64 v[121:122], v[24:25], 2.0, -v[133:134]
	v_dual_mov_b32 v24, v47 :: v_dual_mov_b32 v25, v49
	v_fma_f64 v[14:15], v[123:124], v[77:78], -v[64:65]
	v_or_b32_e32 v101, 32, v35
	v_or_b32_e32 v123, 32, v79
	v_fma_f64 v[18:19], v[127:128], v[90:91], -v[97:98]
	v_fma_f64 v[90:91], v[22:23], 2.0, -v[127:128]
	v_mov_b32_e32 v144, v31
	v_mad_co_u64_u32 v[31:32], null, s13, v35, v[24:25]
	v_mov_b32_e32 v142, v30
	v_mov_b32_e32 v30, v63
	v_mad_co_u64_u32 v[64:65], null, s12, v146, 0
	v_mad_co_u64_u32 v[96:97], null, s12, v101, 0
	v_fma_f64 v[20:21], v[133:134], v[99:100], v[42:43]
	v_mad_co_u64_u32 v[94:95], null, s12, v123, 0
	v_fma_f64 v[42:43], v[26:27], 2.0, -v[135:136]
	v_mad_co_u64_u32 v[77:78], null, s12, v147, 0
	v_mov_b32_e32 v32, v97
	v_fma_f64 v[22:23], v[135:136], v[99:100], -v[40:41]
	v_mad_co_u64_u32 v[98:99], null, s12, v103, 0
	v_mad_co_u64_u32 v[40:41], null, s13, v79, v[25:26]
	v_fma_f64 v[26:27], v[137:138], v[33:34], -v[52:53]
	v_fma_f64 v[24:25], v[113:114], v[33:34], v[56:57]
	v_mad_co_u64_u32 v[34:35], null, s13, v145, v[30:31]
	v_dual_mov_b32 v30, v99 :: v_dual_mov_b32 v33, v95
	v_mov_b32_e32 v47, v31
	v_mad_co_u64_u32 v[68:69], null, s12, v102, 0
	s_delay_alu instid0(VALU_DEP_3) | instskip(SKIP_4) | instid1(VALU_DEP_4)
	v_mad_co_u64_u32 v[56:57], null, s13, v103, v[30:31]
	v_mov_b32_e32 v30, v65
	v_mad_co_u64_u32 v[52:53], null, s13, v101, v[32:33]
	v_mad_co_u64_u32 v[32:33], null, s13, v123, v[33:34]
	;; [unrolled: 1-line block ×4, first 2 shown]
	v_mov_b32_e32 v31, v78
	v_mov_b32_e32 v63, v34
	;; [unrolled: 1-line block ×5, first 2 shown]
	v_mad_co_u64_u32 v[34:35], null, s13, v147, v[31:32]
	v_dual_mov_b32 v65, v30 :: v_dual_mov_b32 v30, v101
	v_or_b32_e32 v35, 32, v146
	s_wait_alu 0xfffe
	s_lshl_b64 s[4:5], s[4:5], 4
	v_mov_b32_e32 v95, v32
	s_wait_alu 0xfffe
	s_add_nc_u64 s[0:1], s[0:1], s[4:5]
	v_mad_co_u64_u32 v[30:31], null, s13, v148, v[30:31]
	v_mad_co_u64_u32 v[123:124], null, s12, v35, 0
	v_or_b32_e32 v31, 32, v147
	v_mad_co_u64_u32 v[40:41], null, s13, v102, v[33:34]
	s_delay_alu instid0(VALU_DEP_4) | instskip(NEXT) | instid1(VALU_DEP_3)
	v_dual_mov_b32 v78, v34 :: v_dual_mov_b32 v101, v30
	v_mad_co_u64_u32 v[127:128], null, s12, v31, 0
	v_dual_mov_b32 v30, v124 :: v_dual_mov_b32 v99, v56
	s_delay_alu instid0(VALU_DEP_4) | instskip(SKIP_2) | instid1(VALU_DEP_4)
	v_mov_b32_e32 v69, v40
	v_fma_f64 v[113:114], v[129:130], 2.0, -v[113:114]
	v_lshlrev_b64_e32 v[129:130], 4, v[141:142]
	v_mad_co_u64_u32 v[33:34], null, s13, v35, v[30:31]
	v_mov_b32_e32 v30, v128
	v_lshlrev_b64_e32 v[146:147], 4, v[68:69]
	v_lshlrev_b64_e32 v[62:63], 4, v[62:63]
	;; [unrolled: 1-line block ×4, first 2 shown]
	v_mad_co_u64_u32 v[34:35], null, s13, v31, v[30:31]
	v_or_b32_e32 v31, 32, v102
	v_or_b32_e32 v35, 32, v148
	ds_load_b128 v[56:59], v28
	v_mov_b32_e32 v124, v33
	v_mad_co_u64_u32 v[133:134], null, s12, v31, 0
	v_mad_co_u64_u32 v[40:41], null, s12, v35, 0
	v_mov_b32_e32 v128, v34
	v_mul_f64_e32 v[33:34], v[121:122], v[111:112]
	v_mul_f64_e32 v[111:112], v[42:43], v[111:112]
	v_lshlrev_b64_e32 v[123:124], 4, v[123:124]
	v_mov_b32_e32 v30, v134
	v_lshlrev_b64_e32 v[127:128], 4, v[127:128]
	s_delay_alu instid0(VALU_DEP_2) | instskip(SKIP_4) | instid1(VALU_DEP_3)
	v_mad_co_u64_u32 v[52:53], null, s13, v31, v[30:31]
	v_mov_b32_e32 v30, v41
	s_wait_dscnt 0x0
	v_add_f64_e64 v[125:126], v[56:57], -v[125:126]
	v_add_f64_e64 v[119:120], v[58:59], -v[119:120]
	v_mad_co_u64_u32 v[135:136], null, s13, v35, v[30:31]
	v_lshlrev_b64_e32 v[30:31], 4, v[139:140]
	v_lshlrev_b64_e32 v[136:137], 4, v[143:144]
	;; [unrolled: 1-line block ×6, first 2 shown]
	v_add_co_u32 v102, vcc_lo, s0, v30
	s_wait_alu 0xfffd
	v_add_co_ci_u32_e32 v103, vcc_lo, s1, v31, vcc_lo
	ds_load_b128 v[29:32], v29
	v_add_co_u32 v46, vcc_lo, v102, v129
	s_wait_alu 0xfffd
	v_add_co_ci_u32_e32 v47, vcc_lo, v103, v130, vcc_lo
	v_mov_b32_e32 v41, v135
	v_add_co_u32 v48, vcc_lo, v102, v136
	v_mul_f64_e32 v[135:136], v[131:132], v[60:61]
	v_mul_f64_e32 v[129:130], v[113:114], v[60:61]
	s_wait_alu 0xfffd
	v_add_co_ci_u32_e32 v49, vcc_lo, v103, v137, vcc_lo
	v_mov_b32_e32 v134, v52
	v_add_co_u32 v52, vcc_lo, v102, v138
	s_wait_alu 0xfffd
	v_add_co_ci_u32_e32 v53, vcc_lo, v103, v139, vcc_lo
	v_mul_f64_e32 v[137:138], v[86:87], v[105:106]
	v_mul_f64_e32 v[104:105], v[88:89], v[105:106]
	v_lshlrev_b64_e32 v[133:134], 4, v[133:134]
	s_wait_dscnt 0x0
	v_add_f64_e64 v[117:118], v[29:30], -v[117:118]
	v_add_f64_e64 v[115:116], v[31:32], -v[115:116]
	v_fma_f64 v[64:65], v[56:57], 2.0, -v[125:126]
	v_fma_f64 v[68:69], v[58:59], 2.0, -v[119:120]
	v_add_co_u32 v56, vcc_lo, v102, v140
	s_wait_alu 0xfffd
	v_add_co_ci_u32_e32 v57, vcc_lo, v103, v141, vcc_lo
	v_add_co_u32 v58, vcc_lo, v102, v62
	s_wait_alu 0xfffd
	v_add_co_ci_u32_e32 v59, vcc_lo, v103, v63, vcc_lo
	v_add_co_u32 v60, vcc_lo, v102, v142
	v_mul_f64_e32 v[139:140], v[125:126], v[157:158]
	v_mul_f64_e32 v[141:142], v[119:120], v[157:158]
	s_wait_alu 0xfffd
	v_add_co_ci_u32_e32 v61, vcc_lo, v103, v143, vcc_lo
	v_add_co_u32 v62, vcc_lo, v102, v144
	s_wait_alu 0xfffd
	v_add_co_ci_u32_e32 v63, vcc_lo, v103, v145, vcc_lo
	v_lshlrev_b64_e32 v[143:144], 4, v[98:99]
	v_fma_f64 v[88:89], v[88:89], v[54:55], -v[137:138]
	v_fma_f64 v[86:87], v[86:87], v[54:55], v[104:105]
	v_fma_f64 v[76:77], v[29:30], 2.0, -v[117:118]
	v_fma_f64 v[78:79], v[31:32], 2.0, -v[115:116]
	v_fma_f64 v[30:31], v[42:43], v[109:110], -v[33:34]
	v_fma_f64 v[28:29], v[121:122], v[109:110], v[111:112]
	v_mul_f64_e32 v[109:110], v[92:93], v[107:108]
	v_mul_f64_e32 v[106:107], v[90:91], v[107:108]
	;; [unrolled: 1-line block ×4, first 2 shown]
	v_fma_f64 v[32:33], v[113:114], v[153:154], v[135:136]
	v_mul_f64_e32 v[113:114], v[80:81], v[84:85]
	v_mul_f64_e32 v[84:85], v[82:83], v[84:85]
	v_fma_f64 v[34:35], v[131:132], v[153:154], -v[129:130]
	v_mul_f64_e32 v[131:132], v[64:65], v[50:51]
	v_mul_f64_e32 v[50:51], v[68:69], v[50:51]
	v_add_co_u32 v42, vcc_lo, v102, v146
	s_wait_alu 0xfffd
	v_add_co_ci_u32_e32 v43, vcc_lo, v103, v147, vcc_lo
	v_lshlrev_b64_e32 v[135:136], 4, v[94:95]
	v_add_co_u32 v54, vcc_lo, v102, v96
	s_wait_alu 0xfffd
	v_add_co_ci_u32_e32 v55, vcc_lo, v103, v97, vcc_lo
	v_fma_f64 v[104:105], v[125:126], v[74:75], v[141:142]
	v_mul_f64_e32 v[129:130], v[76:77], v[44:45]
	v_mul_f64_e32 v[44:45], v[78:79], v[44:45]
	v_fma_f64 v[94:95], v[90:91], v[66:67], -v[109:110]
	v_fma_f64 v[92:93], v[92:93], v[66:67], v[106:107]
	v_fma_f64 v[98:99], v[115:116], v[72:73], -v[111:112]
	v_fma_f64 v[96:97], v[117:118], v[72:73], v[121:122]
	v_fma_f64 v[106:107], v[119:120], v[74:75], -v[139:140]
	v_fma_f64 v[72:73], v[82:83], v[70:71], -v[113:114]
	v_fma_f64 v[70:71], v[80:81], v[70:71], v[84:85]
	v_add_co_u32 v66, vcc_lo, v102, v135
	s_wait_alu 0xfffd
	v_add_co_ci_u32_e32 v67, vcc_lo, v103, v136, vcc_lo
	v_fma_f64 v[78:79], v[78:79], v[38:39], -v[129:130]
	v_fma_f64 v[76:77], v[76:77], v[38:39], v[44:45]
	v_fma_f64 v[38:39], v[68:69], v[36:37], -v[131:132]
	v_fma_f64 v[36:37], v[64:65], v[36:37], v[50:51]
	v_add_co_u32 v44, vcc_lo, v102, v143
	s_wait_alu 0xfffd
	v_add_co_ci_u32_e32 v45, vcc_lo, v103, v144, vcc_lo
	v_add_co_u32 v50, vcc_lo, v102, v123
	s_wait_alu 0xfffd
	v_add_co_ci_u32_e32 v51, vcc_lo, v103, v124, vcc_lo
	v_add_co_u32 v64, vcc_lo, v102, v127
	s_wait_alu 0xfffd
	v_add_co_ci_u32_e32 v65, vcc_lo, v103, v128, vcc_lo
	s_clause 0xa
	global_store_b128 v[46:47], v[4:7], off
	global_store_b128 v[48:49], v[0:3], off
	;; [unrolled: 1-line block ×11, first 2 shown]
	v_add_co_u32 v0, vcc_lo, v102, v133
	v_lshlrev_b64_e32 v[2:3], 4, v[40:41]
	s_wait_alu 0xfffd
	v_add_co_ci_u32_e32 v1, vcc_lo, v103, v134, vcc_lo
	v_add_co_u32 v4, vcc_lo, v102, v100
	s_wait_alu 0xfffd
	v_add_co_ci_u32_e32 v5, vcc_lo, v103, v101, vcc_lo
	v_add_co_u32 v2, vcc_lo, v102, v2
	s_wait_alu 0xfffd
	v_add_co_ci_u32_e32 v3, vcc_lo, v103, v3, vcc_lo
	s_clause 0x4
	global_store_b128 v[64:65], v[70:73], off
	global_store_b128 v[42:43], v[36:39], off
	;; [unrolled: 1-line block ×5, first 2 shown]
.LBB0_12:
	s_nop 0
	s_sendmsg sendmsg(MSG_DEALLOC_VGPRS)
	s_endpgm
	.section	.rodata,"a",@progbits
	.p2align	6, 0x0
	.amdhsa_kernel fft_rtc_back_len64_factors_2_2_8_2_wgs_64_tpt_4_dim2_dp_op_CI_CI_sbcc_twdbase8_2step_dirReg
		.amdhsa_group_segment_fixed_size 0
		.amdhsa_private_segment_fixed_size 0
		.amdhsa_kernarg_size 104
		.amdhsa_user_sgpr_count 2
		.amdhsa_user_sgpr_dispatch_ptr 0
		.amdhsa_user_sgpr_queue_ptr 0
		.amdhsa_user_sgpr_kernarg_segment_ptr 1
		.amdhsa_user_sgpr_dispatch_id 0
		.amdhsa_user_sgpr_private_segment_size 0
		.amdhsa_wavefront_size32 1
		.amdhsa_uses_dynamic_stack 0
		.amdhsa_enable_private_segment 0
		.amdhsa_system_sgpr_workgroup_id_x 1
		.amdhsa_system_sgpr_workgroup_id_y 0
		.amdhsa_system_sgpr_workgroup_id_z 0
		.amdhsa_system_sgpr_workgroup_info 0
		.amdhsa_system_vgpr_workitem_id 0
		.amdhsa_next_free_vgpr 159
		.amdhsa_next_free_sgpr 29
		.amdhsa_reserve_vcc 1
		.amdhsa_float_round_mode_32 0
		.amdhsa_float_round_mode_16_64 0
		.amdhsa_float_denorm_mode_32 3
		.amdhsa_float_denorm_mode_16_64 3
		.amdhsa_fp16_overflow 0
		.amdhsa_workgroup_processor_mode 1
		.amdhsa_memory_ordered 1
		.amdhsa_forward_progress 0
		.amdhsa_round_robin_scheduling 0
		.amdhsa_exception_fp_ieee_invalid_op 0
		.amdhsa_exception_fp_denorm_src 0
		.amdhsa_exception_fp_ieee_div_zero 0
		.amdhsa_exception_fp_ieee_overflow 0
		.amdhsa_exception_fp_ieee_underflow 0
		.amdhsa_exception_fp_ieee_inexact 0
		.amdhsa_exception_int_div_zero 0
	.end_amdhsa_kernel
	.text
.Lfunc_end0:
	.size	fft_rtc_back_len64_factors_2_2_8_2_wgs_64_tpt_4_dim2_dp_op_CI_CI_sbcc_twdbase8_2step_dirReg, .Lfunc_end0-fft_rtc_back_len64_factors_2_2_8_2_wgs_64_tpt_4_dim2_dp_op_CI_CI_sbcc_twdbase8_2step_dirReg
                                        ; -- End function
	.section	.AMDGPU.csdata,"",@progbits
; Kernel info:
; codeLenInByte = 9796
; NumSgprs: 31
; NumVgprs: 159
; ScratchSize: 0
; MemoryBound: 1
; FloatMode: 240
; IeeeMode: 1
; LDSByteSize: 0 bytes/workgroup (compile time only)
; SGPRBlocks: 3
; VGPRBlocks: 19
; NumSGPRsForWavesPerEU: 31
; NumVGPRsForWavesPerEU: 159
; Occupancy: 9
; WaveLimiterHint : 1
; COMPUTE_PGM_RSRC2:SCRATCH_EN: 0
; COMPUTE_PGM_RSRC2:USER_SGPR: 2
; COMPUTE_PGM_RSRC2:TRAP_HANDLER: 0
; COMPUTE_PGM_RSRC2:TGID_X_EN: 1
; COMPUTE_PGM_RSRC2:TGID_Y_EN: 0
; COMPUTE_PGM_RSRC2:TGID_Z_EN: 0
; COMPUTE_PGM_RSRC2:TIDIG_COMP_CNT: 0
	.text
	.p2alignl 7, 3214868480
	.fill 96, 4, 3214868480
	.type	__hip_cuid_7f5d7789672a31d4,@object ; @__hip_cuid_7f5d7789672a31d4
	.section	.bss,"aw",@nobits
	.globl	__hip_cuid_7f5d7789672a31d4
__hip_cuid_7f5d7789672a31d4:
	.byte	0                               ; 0x0
	.size	__hip_cuid_7f5d7789672a31d4, 1

	.ident	"AMD clang version 19.0.0git (https://github.com/RadeonOpenCompute/llvm-project roc-6.4.0 25133 c7fe45cf4b819c5991fe208aaa96edf142730f1d)"
	.section	".note.GNU-stack","",@progbits
	.addrsig
	.addrsig_sym __hip_cuid_7f5d7789672a31d4
	.amdgpu_metadata
---
amdhsa.kernels:
  - .args:
      - .actual_access:  read_only
        .address_space:  global
        .offset:         0
        .size:           8
        .value_kind:     global_buffer
      - .address_space:  global
        .offset:         8
        .size:           8
        .value_kind:     global_buffer
      - .actual_access:  read_only
        .address_space:  global
        .offset:         16
        .size:           8
        .value_kind:     global_buffer
      - .actual_access:  read_only
        .address_space:  global
        .offset:         24
        .size:           8
        .value_kind:     global_buffer
      - .actual_access:  read_only
        .address_space:  global
        .offset:         32
        .size:           8
        .value_kind:     global_buffer
      - .offset:         40
        .size:           8
        .value_kind:     by_value
      - .actual_access:  read_only
        .address_space:  global
        .offset:         48
        .size:           8
        .value_kind:     global_buffer
      - .actual_access:  read_only
        .address_space:  global
        .offset:         56
        .size:           8
        .value_kind:     global_buffer
      - .offset:         64
        .size:           4
        .value_kind:     by_value
      - .actual_access:  read_only
        .address_space:  global
        .offset:         72
        .size:           8
        .value_kind:     global_buffer
      - .actual_access:  read_only
        .address_space:  global
        .offset:         80
        .size:           8
        .value_kind:     global_buffer
      - .actual_access:  read_only
        .address_space:  global
        .offset:         88
        .size:           8
        .value_kind:     global_buffer
      - .actual_access:  write_only
        .address_space:  global
        .offset:         96
        .size:           8
        .value_kind:     global_buffer
    .group_segment_fixed_size: 0
    .kernarg_segment_align: 8
    .kernarg_segment_size: 104
    .language:       OpenCL C
    .language_version:
      - 2
      - 0
    .max_flat_workgroup_size: 64
    .name:           fft_rtc_back_len64_factors_2_2_8_2_wgs_64_tpt_4_dim2_dp_op_CI_CI_sbcc_twdbase8_2step_dirReg
    .private_segment_fixed_size: 0
    .sgpr_count:     31
    .sgpr_spill_count: 0
    .symbol:         fft_rtc_back_len64_factors_2_2_8_2_wgs_64_tpt_4_dim2_dp_op_CI_CI_sbcc_twdbase8_2step_dirReg.kd
    .uniform_work_group_size: 1
    .uses_dynamic_stack: false
    .vgpr_count:     159
    .vgpr_spill_count: 0
    .wavefront_size: 32
    .workgroup_processor_mode: 1
amdhsa.target:   amdgcn-amd-amdhsa--gfx1201
amdhsa.version:
  - 1
  - 2
...

	.end_amdgpu_metadata
